;; amdgpu-corpus repo=triton-lang/triton kind=triton arch=gfx1201 opt=O3 lang=triton
	.amdgcn_target "amdgcn-amd-amdhsa--gfx1201"
	.amdhsa_code_object_version 5
	.text
	.globl	_masked_compaction              ; -- Begin function _masked_compaction
	.p2align	8
	.type	_masked_compaction,@function
_masked_compaction:                     ; @_masked_compaction
.Lfunc_begin0:
	.file	1 "/root/src/amdgpu-assembly/repos/triton-lang__triton-aot" "masked_compaction.py"
	.loc	1 8 0                           ; masked_compaction.py:8:0
	.cfi_sections .debug_frame
	.cfi_startproc
; %bb.0:
	s_load_b256 s[4:11], s[0:1], 0x0
.Ltmp0:
	.loc	1 10 47 prologue_end            ; masked_compaction.py:10:47
	v_and_b32_e32 v6, 31, v0
	.loc	1 22 45                         ; masked_compaction.py:22:45
	s_bfe_u32 s12, ttmp8, 0x50019
	.loc	1 10 30                         ; masked_compaction.py:10:30
	s_lshl_b32 s2, ttmp9, 6
	.loc	1 10 47 is_stmt 0               ; masked_compaction.py:10:47
	s_lshl_b32 s3, s12, 5
	s_mov_b32 s19, 0x31027000
	v_and_or_b32 v3, s3, 32, v6
	.loc	1 10 22                         ; masked_compaction.py:10:22
	s_ashr_i32 s3, s2, 31
	s_mov_b32 s18, 0x7ffffffe
	s_wait_alu depctr_sa_sdst(0)
	s_lshl_b64 s[2:3], s[2:3], 2
	.loc	1 10 17                         ; masked_compaction.py:10:17
	v_lshlrev_b32_e32 v2, 2, v3
	.loc	1 10 22                         ; masked_compaction.py:10:22
	s_wait_kmcnt 0x0
	s_wait_alu depctr_sa_sdst(0)
	s_add_nc_u64 s[16:17], s[4:5], s[2:3]
	.loc	1 14 45 is_stmt 1               ; masked_compaction.py:14:45
	s_mul_i32 s4, s10, ttmp9
	.loc	1 10 17                         ; masked_compaction.py:10:17
	s_and_b32 s17, s17, 0xffff
	.loc	1 14 37                         ; masked_compaction.py:14:37
	s_ashr_i32 s5, s4, 31
	.loc	1 10 17                         ; masked_compaction.py:10:17
	buffer_load_b32 v1, v2, s[16:19], null offen
	.loc	1 11 22                         ; masked_compaction.py:11:22
	s_add_nc_u64 s[16:17], s[6:7], s[2:3]
	.loc	1 14 37                         ; masked_compaction.py:14:37
	s_lshl_b64 s[4:5], s[4:5], 2
	.loc	1 11 17                         ; masked_compaction.py:11:17
	s_and_b32 s17, s17, 0xffff
	.loc	1 14 37                         ; masked_compaction.py:14:37
	s_add_nc_u64 s[4:5], s[8:9], s[4:5]
	.loc	1 11 17                         ; masked_compaction.py:11:17
	buffer_load_b32 v2, v2, s[16:19], null offen
	.loc	1 12 16                         ; masked_compaction.py:12:16
	s_wait_loadcnt 0x0
	v_ashrrev_i32_e32 v4, 31, v2
	.loc	1 14 77                         ; masked_compaction.py:14:77
	v_and_b32_e32 v7, 31, v2
	s_delay_alu instid0(VALU_DEP_2) | instskip(NEXT) | instid1(VALU_DEP_1)
	.loc	1 12 16                         ; masked_compaction.py:12:16
	v_lshrrev_b32_e32 v4, 27, v4
	v_add_nc_u32_e32 v4, v2, v4
	s_delay_alu instid0(VALU_DEP_1) | instskip(NEXT) | instid1(VALU_DEP_1)
	v_ashrrev_i32_e32 v4, 5, v4
	.loc	1 14 63                         ; masked_compaction.py:14:63
	v_mul_lo_u32 v4, v4, s11
	s_delay_alu instid0(VALU_DEP_1) | instskip(NEXT) | instid1(VALU_DEP_1)
	.loc	1 14 57 is_stmt 0               ; masked_compaction.py:14:57
	v_ashrrev_i32_e32 v5, 31, v4
	v_lshlrev_b64_e32 v[4:5], 2, v[4:5]
	s_delay_alu instid0(VALU_DEP_1) | instskip(NEXT) | instid1(VALU_DEP_1)
	v_add_co_u32 v4, vcc_lo, s4, v4
	v_add_co_ci_u32_e64 v5, null, s5, v5, vcc_lo
.Ltmp1:
	.file	2 "/root/.local/lib/python3.13/site-packages/triton/language" "standard.py"
	.loc	2 343 60 is_stmt 1              ; standard.py:343:60 @[ masked_compaction.py:15:40 ]
	v_cmp_ne_u32_e32 vcc_lo, 0, v6
	s_mov_b32 s4, exec_lo
.Ltmp2:
	.loc	1 14 27                         ; masked_compaction.py:14:27
	global_load_b32 v4, v[4:5], off
.Ltmp3:
	.loc	2 343 60                        ; standard.py:343:60 @[ masked_compaction.py:15:40 ]
	v_sub_nc_u32_e64 v5, v6, 1 clamp
	s_delay_alu instid0(VALU_DEP_1)
	v_lshlrev_b32_e32 v5, 2, v5
.Ltmp4:
	.loc	1 14 84                         ; masked_compaction.py:14:84
	s_wait_loadcnt 0x0
	v_bfe_u32 v4, v4, v7, 1
.Ltmp5:
	.loc	2 343 60                        ; standard.py:343:60 @[ masked_compaction.py:15:40 ]
	ds_bpermute_b32 v5, v5, v4
	s_wait_dscnt 0x0
	s_wait_alu depctr_va_vcc(0)
	v_cndmask_b32_e32 v5, 0, v5, vcc_lo
	v_lshlrev_b32_e32 v7, 2, v6
	v_cmp_gt_u32_e32 vcc_lo, 2, v6
	s_delay_alu instid0(VALU_DEP_3) | instskip(NEXT) | instid1(VALU_DEP_3)
	v_add_nc_u32_e32 v5, v4, v5
	v_add_nc_u32_e32 v8, -8, v7
	v_add_nc_u32_e32 v9, -16, v7
	s_wait_alu depctr_va_vcc(0)
	s_delay_alu instid0(VALU_DEP_2)
	v_cndmask_b32_e32 v8, v8, v7, vcc_lo
	v_cmp_lt_u32_e32 vcc_lo, 1, v6
	ds_bpermute_b32 v8, v8, v5
	s_wait_dscnt 0x0
	s_wait_alu depctr_va_vcc(0)
	v_cndmask_b32_e32 v8, 0, v8, vcc_lo
	v_cmp_gt_u32_e32 vcc_lo, 4, v6
	s_delay_alu instid0(VALU_DEP_2)
	v_add_nc_u32_e32 v5, v5, v8
	s_wait_alu depctr_va_vcc(0)
	v_cndmask_b32_e32 v9, v9, v7, vcc_lo
	v_cmp_lt_u32_e32 vcc_lo, 3, v6
	ds_bpermute_b32 v8, v9, v5
	s_wait_dscnt 0x0
	s_wait_alu depctr_va_vcc(0)
	v_cndmask_b32_e32 v8, 0, v8, vcc_lo
	v_subrev_nc_u32_e32 v9, 32, v7
	v_cmp_gt_u32_e32 vcc_lo, 8, v6
	s_delay_alu instid0(VALU_DEP_3) | instskip(SKIP_1) | instid1(VALU_DEP_3)
	v_add_nc_u32_e32 v5, v5, v8
	s_wait_alu depctr_va_vcc(0)
	v_cndmask_b32_e32 v9, v9, v7, vcc_lo
	v_cmp_lt_u32_e32 vcc_lo, 7, v6
	ds_bpermute_b32 v8, v9, v5
	v_subrev_nc_u32_e32 v9, 64, v7
	s_wait_dscnt 0x0
	s_wait_alu depctr_va_vcc(0)
	v_cndmask_b32_e32 v8, 0, v8, vcc_lo
	v_cmp_gt_u32_e32 vcc_lo, 16, v6
	s_delay_alu instid0(VALU_DEP_2)
	v_add_nc_u32_e32 v8, v5, v8
	s_wait_alu depctr_va_vcc(0)
	v_cndmask_b32_e32 v7, v9, v7, vcc_lo
	v_cmp_lt_u32_e32 vcc_lo, 15, v6
	ds_bpermute_b32 v5, v7, v8
	s_wait_dscnt 0x0
	s_wait_alu depctr_va_vcc(0)
	v_dual_cndmask_b32 v6, 0, v5 :: v_dual_and_b32 v7, 0x5f, v0
	v_bfe_u32 v5, v0, 5, 1
	s_delay_alu instid0(VALU_DEP_2) | instskip(NEXT) | instid1(VALU_DEP_3)
	v_add_nc_u32_e32 v0, v8, v6
	v_cmpx_eq_u32_e32 31, v7
; %bb.1:
	.loc	2 0 60 is_stmt 0                ; standard.py:0:60
	s_delay_alu instid0(VALU_DEP_3)
	v_lshl_add_u32 v6, v5, 2, 0
	.loc	2 343 60                        ; standard.py:343:60 @[ masked_compaction.py:15:40 ]
	ds_store_b32 v6, v0
; %bb.2:
	.loc	2 0 60                          ; standard.py:0:60
	s_wait_alu depctr_sa_sdst(0)
	s_or_b32 exec_lo, exec_lo, s4
	.loc	2 343 60                        ; standard.py:343:60 @[ masked_compaction.py:15:40 ]
	s_wait_dscnt 0x0
	s_barrier_signal -1
.Ltmp6:
	.loc	1 21 45 is_stmt 1               ; masked_compaction.py:21:45
	s_bitcmp1_b32 s12, 1
.Ltmp7:
	.loc	2 343 60                        ; standard.py:343:60 @[ masked_compaction.py:15:40 ]
	s_barrier_wait -1
	global_inv scope:SCOPE_SE
.Ltmp8:
	.loc	1 21 45                         ; masked_compaction.py:21:45
	s_cbranch_scc1 .LBB0_4
; %bb.3:
	.loc	1 17 51                         ; masked_compaction.py:17:51
	v_xor_b32_e32 v3, 63, v3
	.loc	1 16 34                         ; masked_compaction.py:16:34
	v_cmp_eq_u32_e32 vcc_lo, 0, v4
.Ltmp9:
	.loc	2 343 60                        ; standard.py:343:60 @[ masked_compaction.py:15:40 ]
	v_mov_b32_e32 v6, 0
	s_clause 0x1
	s_load_b32 s8, s[0:1], 0x30
	s_load_b128 s[4:7], s[0:1], 0x20
	v_cmp_ne_u32_e64 s0, 0, v5
.Ltmp10:
	.loc	1 17 43                         ; masked_compaction.py:17:43
	v_cndmask_b32_e32 v3, 0, v3, vcc_lo
.Ltmp11:
	.loc	2 343 60                        ; standard.py:343:60 @[ masked_compaction.py:15:40 ]
	ds_load_b32 v7, v6
	v_sub_nc_u32_e32 v3, v3, v4
	s_wait_kmcnt 0x0
	s_cvt_f32_i32 s9, s8
	s_wait_dscnt 0x0
	v_cndmask_b32_e64 v4, 0, v7, s0
	s_add_nc_u64 s[0:1], s[6:7], s[2:3]
	s_add_nc_u64 s[2:3], s[4:5], s[2:3]
	s_delay_alu instid0(VALU_DEP_1) | instskip(NEXT) | instid1(VALU_DEP_1)
.Ltmp12:
	.loc	1 18 30                         ; masked_compaction.py:18:30
	v_add3_u32 v5, v3, v0, v4
	v_lshlrev_b64_e32 v[3:4], 2, v[5:6]
	.loc	1 20 36                         ; masked_compaction.py:20:36
	v_cndmask_b32_e64 v5, v2, s8, vcc_lo
	v_cndmask_b32_e64 v6, v1, s9, vcc_lo
	s_wait_alu depctr_sa_sdst(0)
	s_delay_alu instid0(VALU_DEP_3)
	v_add_co_u32 v0, vcc_lo, s2, v3
	s_wait_alu depctr_va_vcc(0)
	v_add_co_ci_u32_e64 v1, null, s3, v4, vcc_lo
	v_add_co_u32 v2, vcc_lo, s0, v3
	s_wait_alu depctr_va_vcc(0)
	v_add_co_ci_u32_e64 v3, null, s1, v4, vcc_lo
	.loc	1 21 45                         ; masked_compaction.py:21:45
	global_store_b32 v[0:1], v6, off
	.loc	1 22 45                         ; masked_compaction.py:22:45
	global_store_b32 v[2:3], v5, off
.LBB0_4:                                ; %.critedge
	.loc	1 22 4                          ; masked_compaction.py:22:4
	s_endpgm
.Ltmp13:
	.section	.rodata,"a",@progbits
	.p2align	6, 0x0
	.amdhsa_kernel _masked_compaction
		.amdhsa_group_segment_fixed_size 0
		.amdhsa_private_segment_fixed_size 0
		.amdhsa_kernarg_size 72
		.amdhsa_user_sgpr_count 2
		.amdhsa_user_sgpr_dispatch_ptr 0
		.amdhsa_user_sgpr_queue_ptr 0
		.amdhsa_user_sgpr_kernarg_segment_ptr 1
		.amdhsa_user_sgpr_dispatch_id 0
		.amdhsa_user_sgpr_private_segment_size 0
		.amdhsa_wavefront_size32 1
		.amdhsa_uses_dynamic_stack 0
		.amdhsa_enable_private_segment 0
		.amdhsa_system_sgpr_workgroup_id_x 1
		.amdhsa_system_sgpr_workgroup_id_y 1
		.amdhsa_system_sgpr_workgroup_id_z 1
		.amdhsa_system_sgpr_workgroup_info 0
		.amdhsa_system_vgpr_workitem_id 0
		.amdhsa_next_free_vgpr 10
		.amdhsa_next_free_sgpr 20
		.amdhsa_reserve_vcc 1
		.amdhsa_float_round_mode_32 0
		.amdhsa_float_round_mode_16_64 0
		.amdhsa_float_denorm_mode_32 3
		.amdhsa_float_denorm_mode_16_64 3
		.amdhsa_fp16_overflow 0
		.amdhsa_workgroup_processor_mode 1
		.amdhsa_memory_ordered 1
		.amdhsa_forward_progress 1
		.amdhsa_inst_pref_size 6
		.amdhsa_round_robin_scheduling 0
		.amdhsa_exception_fp_ieee_invalid_op 0
		.amdhsa_exception_fp_denorm_src 0
		.amdhsa_exception_fp_ieee_div_zero 0
		.amdhsa_exception_fp_ieee_overflow 0
		.amdhsa_exception_fp_ieee_underflow 0
		.amdhsa_exception_fp_ieee_inexact 0
		.amdhsa_exception_int_div_zero 0
	.end_amdhsa_kernel
	.text
.Lfunc_end0:
	.size	_masked_compaction, .Lfunc_end0-_masked_compaction
	.cfi_endproc
                                        ; -- End function
	.set _masked_compaction.num_vgpr, 10
	.set _masked_compaction.num_agpr, 0
	.set _masked_compaction.numbered_sgpr, 20
	.set _masked_compaction.num_named_barrier, 0
	.set _masked_compaction.private_seg_size, 0
	.set _masked_compaction.uses_vcc, 1
	.set _masked_compaction.uses_flat_scratch, 0
	.set _masked_compaction.has_dyn_sized_stack, 0
	.set _masked_compaction.has_recursion, 0
	.set _masked_compaction.has_indirect_call, 0
	.section	.AMDGPU.csdata,"",@progbits
; Kernel info:
; codeLenInByte = 760
; TotalNumSgprs: 22
; NumVgprs: 10
; ScratchSize: 0
; MemoryBound: 0
; FloatMode: 240
; IeeeMode: 1
; LDSByteSize: 0 bytes/workgroup (compile time only)
; SGPRBlocks: 0
; VGPRBlocks: 1
; NumSGPRsForWavesPerEU: 22
; NumVGPRsForWavesPerEU: 10
; Occupancy: 16
; WaveLimiterHint : 1
; COMPUTE_PGM_RSRC2:SCRATCH_EN: 0
; COMPUTE_PGM_RSRC2:USER_SGPR: 2
; COMPUTE_PGM_RSRC2:TRAP_HANDLER: 0
; COMPUTE_PGM_RSRC2:TGID_X_EN: 1
; COMPUTE_PGM_RSRC2:TGID_Y_EN: 1
; COMPUTE_PGM_RSRC2:TGID_Z_EN: 1
; COMPUTE_PGM_RSRC2:TIDIG_COMP_CNT: 0
	.text
	.p2alignl 7, 3214868480
	.fill 96, 4, 3214868480
	.section	.AMDGPU.gpr_maximums,"",@progbits
	.set amdgpu.max_num_vgpr, 0
	.set amdgpu.max_num_agpr, 0
	.set amdgpu.max_num_sgpr, 0
	.set amdgpu.max_num_named_barrier, 0
	.text
	.section	.debug_abbrev,"",@progbits
	.byte	1                               ; Abbreviation Code
	.byte	17                              ; DW_TAG_compile_unit
	.byte	1                               ; DW_CHILDREN_yes
	.byte	37                              ; DW_AT_producer
	.byte	14                              ; DW_FORM_strp
	.byte	19                              ; DW_AT_language
	.byte	5                               ; DW_FORM_data2
	.byte	3                               ; DW_AT_name
	.byte	14                              ; DW_FORM_strp
	.byte	16                              ; DW_AT_stmt_list
	.byte	23                              ; DW_FORM_sec_offset
	.byte	27                              ; DW_AT_comp_dir
	.byte	14                              ; DW_FORM_strp
	.byte	17                              ; DW_AT_low_pc
	.byte	1                               ; DW_FORM_addr
	.byte	18                              ; DW_AT_high_pc
	.byte	6                               ; DW_FORM_data4
	.byte	0                               ; EOM(1)
	.byte	0                               ; EOM(2)
	.byte	2                               ; Abbreviation Code
	.byte	46                              ; DW_TAG_subprogram
	.byte	0                               ; DW_CHILDREN_no
	.byte	3                               ; DW_AT_name
	.byte	14                              ; DW_FORM_strp
	.byte	32                              ; DW_AT_inline
	.byte	11                              ; DW_FORM_data1
	.byte	0                               ; EOM(1)
	.byte	0                               ; EOM(2)
	.byte	3                               ; Abbreviation Code
	.byte	46                              ; DW_TAG_subprogram
	.byte	1                               ; DW_CHILDREN_yes
	.byte	17                              ; DW_AT_low_pc
	.byte	1                               ; DW_FORM_addr
	.byte	18                              ; DW_AT_high_pc
	.byte	6                               ; DW_FORM_data4
	.byte	49                              ; DW_AT_abstract_origin
	.byte	19                              ; DW_FORM_ref4
	.byte	0                               ; EOM(1)
	.byte	0                               ; EOM(2)
	.byte	4                               ; Abbreviation Code
	.byte	29                              ; DW_TAG_inlined_subroutine
	.byte	0                               ; DW_CHILDREN_no
	.byte	49                              ; DW_AT_abstract_origin
	.byte	19                              ; DW_FORM_ref4
	.byte	85                              ; DW_AT_ranges
	.byte	23                              ; DW_FORM_sec_offset
	.byte	88                              ; DW_AT_call_file
	.byte	11                              ; DW_FORM_data1
	.byte	89                              ; DW_AT_call_line
	.byte	11                              ; DW_FORM_data1
	.byte	87                              ; DW_AT_call_column
	.byte	11                              ; DW_FORM_data1
	.byte	0                               ; EOM(1)
	.byte	0                               ; EOM(2)
	;; [unrolled: 1-line block ×3, first 2 shown]
	.section	.debug_info,"",@progbits
.Lcu_begin0:
	.long	.Ldebug_info_end0-.Ldebug_info_start0 ; Length of Unit
.Ldebug_info_start0:
	.short	4                               ; DWARF version number
	.long	.debug_abbrev                   ; Offset Into Abbrev. Section
	.byte	8                               ; Address Size (in bytes)
	.byte	1                               ; Abbrev [1] 0xb:0x44 DW_TAG_compile_unit
	.long	.Linfo_string0                  ; DW_AT_producer
	.short	2                               ; DW_AT_language
	.long	.Linfo_string1                  ; DW_AT_name
	.long	.Lline_table_start0             ; DW_AT_stmt_list
	.long	.Linfo_string2                  ; DW_AT_comp_dir
	.quad	.Lfunc_begin0                   ; DW_AT_low_pc
	.long	.Lfunc_end0-.Lfunc_begin0       ; DW_AT_high_pc
	.byte	2                               ; Abbrev [2] 0x2a:0x6 DW_TAG_subprogram
	.long	.Linfo_string3                  ; DW_AT_name
	.byte	1                               ; DW_AT_inline
	.byte	3                               ; Abbrev [3] 0x30:0x1e DW_TAG_subprogram
	.quad	.Lfunc_begin0                   ; DW_AT_low_pc
	.long	.Lfunc_end0-.Lfunc_begin0       ; DW_AT_high_pc
	.long	42                              ; DW_AT_abstract_origin
	.byte	4                               ; Abbrev [4] 0x41:0xc DW_TAG_inlined_subroutine
	.long	42                              ; DW_AT_abstract_origin
	.long	.Ldebug_ranges0                 ; DW_AT_ranges
	.byte	1                               ; DW_AT_call_file
	.byte	15                              ; DW_AT_call_line
	.byte	40                              ; DW_AT_call_column
	.byte	0                               ; End Of Children Mark
	.byte	0                               ; End Of Children Mark
.Ldebug_info_end0:
	.section	.debug_ranges,"",@progbits
.Ldebug_ranges0:
	.quad	.Ltmp1-.Lfunc_begin0
	.quad	.Ltmp2-.Lfunc_begin0
	;; [unrolled: 1-line block ×12, first 2 shown]
	.quad	0
	.quad	0
	.section	.debug_str,"MS",@progbits,1
.Linfo_string0:
	.asciz	"triton"                        ; string offset=0
.Linfo_string1:
	.asciz	"masked_compaction.py"          ; string offset=7
.Linfo_string2:
	.asciz	"/root/src/amdgpu-assembly/repos/triton-lang__triton-aot" ; string offset=28
.Linfo_string3:
	.asciz	"_masked_compaction"            ; string offset=84
	.section	".note.GNU-stack","",@progbits
	.amdgpu_metadata
---
amdhsa.kernels:
  - .args:
      - .address_space:  global
        .offset:         0
        .size:           8
        .value_kind:     global_buffer
      - .address_space:  global
        .offset:         8
        .size:           8
        .value_kind:     global_buffer
      - .address_space:  global
        .offset:         16
        .size:           8
        .value_kind:     global_buffer
      - .offset:         24
        .size:           4
        .value_kind:     by_value
      - .offset:         28
        .size:           4
        .value_kind:     by_value
      - .address_space:  global
        .offset:         32
        .size:           8
        .value_kind:     global_buffer
      - .address_space:  global
        .offset:         40
        .size:           8
        .value_kind:     global_buffer
      - .offset:         48
        .size:           4
        .value_kind:     by_value
      - .address_space:  global
        .offset:         56
        .size:           8
        .value_kind:     global_buffer
      - .address_space:  global
        .offset:         64
        .size:           8
        .value_kind:     global_buffer
    .group_segment_fixed_size: 0
    .kernarg_segment_align: 8
    .kernarg_segment_size: 72
    .max_flat_workgroup_size: 128
    .name:           _masked_compaction
    .private_segment_fixed_size: 0
    .sgpr_count:     22
    .sgpr_spill_count: 0
    .symbol:         _masked_compaction.kd
    .uniform_work_group_size: 1
    .uses_dynamic_stack: false
    .vgpr_count:     10
    .vgpr_spill_count: 0
    .wavefront_size: 32
    .workgroup_processor_mode: 1
amdhsa.target:   amdgcn-amd-amdhsa--gfx1201
amdhsa.version:
  - 1
  - 2
...

	.end_amdgpu_metadata
	.section	.debug_line,"",@progbits
.Lline_table_start0:
